;; amdgpu-corpus repo=ROCm/rocFFT kind=compiled arch=gfx906 opt=O3
	.text
	.amdgcn_target "amdgcn-amd-amdhsa--gfx906"
	.amdhsa_code_object_version 6
	.protected	fft_rtc_back_len1080_factors_6_10_6_3_wgs_216_tpt_108_halfLds_half_ip_CI_sbrr_dirReg ; -- Begin function fft_rtc_back_len1080_factors_6_10_6_3_wgs_216_tpt_108_halfLds_half_ip_CI_sbrr_dirReg
	.globl	fft_rtc_back_len1080_factors_6_10_6_3_wgs_216_tpt_108_halfLds_half_ip_CI_sbrr_dirReg
	.p2align	8
	.type	fft_rtc_back_len1080_factors_6_10_6_3_wgs_216_tpt_108_halfLds_half_ip_CI_sbrr_dirReg,@function
fft_rtc_back_len1080_factors_6_10_6_3_wgs_216_tpt_108_halfLds_half_ip_CI_sbrr_dirReg: ; @fft_rtc_back_len1080_factors_6_10_6_3_wgs_216_tpt_108_halfLds_half_ip_CI_sbrr_dirReg
; %bb.0:
	s_load_dwordx2 s[2:3], s[4:5], 0x18
	s_load_dwordx4 s[8:11], s[4:5], 0x0
	s_load_dwordx2 s[14:15], s[4:5], 0x50
	v_mul_u32_u24_e32 v1, 0x25f, v0
	v_lshrrev_b32_e32 v9, 16, v1
	s_waitcnt lgkmcnt(0)
	s_load_dwordx2 s[12:13], s[2:3], 0x0
	v_cmp_lt_u64_e64 s[0:1], s[10:11], 2
	v_mov_b32_e32 v3, 0
	v_mov_b32_e32 v1, 0
	v_lshl_add_u32 v5, s6, 1, v9
	v_mov_b32_e32 v6, v3
	s_and_b64 vcc, exec, s[0:1]
	v_mov_b32_e32 v2, 0
	s_cbranch_vccnz .LBB0_8
; %bb.1:
	s_load_dwordx2 s[0:1], s[4:5], 0x10
	s_add_u32 s6, s2, 8
	s_addc_u32 s7, s3, 0
	v_mov_b32_e32 v1, 0
	v_mov_b32_e32 v2, 0
	s_waitcnt lgkmcnt(0)
	s_add_u32 s16, s0, 8
	s_addc_u32 s17, s1, 0
	s_mov_b64 s[18:19], 1
.LBB0_2:                                ; =>This Inner Loop Header: Depth=1
	s_load_dwordx2 s[20:21], s[16:17], 0x0
                                        ; implicit-def: $vgpr7_vgpr8
	s_waitcnt lgkmcnt(0)
	v_or_b32_e32 v4, s21, v6
	v_cmp_ne_u64_e32 vcc, 0, v[3:4]
	s_and_saveexec_b64 s[0:1], vcc
	s_xor_b64 s[22:23], exec, s[0:1]
	s_cbranch_execz .LBB0_4
; %bb.3:                                ;   in Loop: Header=BB0_2 Depth=1
	v_cvt_f32_u32_e32 v4, s20
	v_cvt_f32_u32_e32 v7, s21
	s_sub_u32 s0, 0, s20
	s_subb_u32 s1, 0, s21
	v_mac_f32_e32 v4, 0x4f800000, v7
	v_rcp_f32_e32 v4, v4
	v_mul_f32_e32 v4, 0x5f7ffffc, v4
	v_mul_f32_e32 v7, 0x2f800000, v4
	v_trunc_f32_e32 v7, v7
	v_mac_f32_e32 v4, 0xcf800000, v7
	v_cvt_u32_f32_e32 v7, v7
	v_cvt_u32_f32_e32 v4, v4
	v_mul_lo_u32 v8, s0, v7
	v_mul_hi_u32 v10, s0, v4
	v_mul_lo_u32 v12, s1, v4
	v_mul_lo_u32 v11, s0, v4
	v_add_u32_e32 v8, v10, v8
	v_add_u32_e32 v8, v8, v12
	v_mul_hi_u32 v10, v4, v11
	v_mul_lo_u32 v12, v4, v8
	v_mul_hi_u32 v14, v4, v8
	v_mul_hi_u32 v13, v7, v11
	v_mul_lo_u32 v11, v7, v11
	v_mul_hi_u32 v15, v7, v8
	v_add_co_u32_e32 v10, vcc, v10, v12
	v_addc_co_u32_e32 v12, vcc, 0, v14, vcc
	v_mul_lo_u32 v8, v7, v8
	v_add_co_u32_e32 v10, vcc, v10, v11
	v_addc_co_u32_e32 v10, vcc, v12, v13, vcc
	v_addc_co_u32_e32 v11, vcc, 0, v15, vcc
	v_add_co_u32_e32 v8, vcc, v10, v8
	v_addc_co_u32_e32 v10, vcc, 0, v11, vcc
	v_add_co_u32_e32 v4, vcc, v4, v8
	v_addc_co_u32_e32 v7, vcc, v7, v10, vcc
	v_mul_lo_u32 v8, s0, v7
	v_mul_hi_u32 v10, s0, v4
	v_mul_lo_u32 v11, s1, v4
	v_mul_lo_u32 v12, s0, v4
	v_add_u32_e32 v8, v10, v8
	v_add_u32_e32 v8, v8, v11
	v_mul_lo_u32 v13, v4, v8
	v_mul_hi_u32 v14, v4, v12
	v_mul_hi_u32 v15, v4, v8
	v_mul_hi_u32 v11, v7, v12
	v_mul_lo_u32 v12, v7, v12
	v_mul_hi_u32 v10, v7, v8
	v_add_co_u32_e32 v13, vcc, v14, v13
	v_addc_co_u32_e32 v14, vcc, 0, v15, vcc
	v_mul_lo_u32 v8, v7, v8
	v_add_co_u32_e32 v12, vcc, v13, v12
	v_addc_co_u32_e32 v11, vcc, v14, v11, vcc
	v_addc_co_u32_e32 v10, vcc, 0, v10, vcc
	v_add_co_u32_e32 v8, vcc, v11, v8
	v_addc_co_u32_e32 v10, vcc, 0, v10, vcc
	v_add_co_u32_e32 v4, vcc, v4, v8
	v_addc_co_u32_e32 v10, vcc, v7, v10, vcc
	v_mad_u64_u32 v[7:8], s[0:1], v5, v10, 0
	v_mul_hi_u32 v11, v5, v4
	v_add_co_u32_e32 v12, vcc, v11, v7
	v_addc_co_u32_e32 v13, vcc, 0, v8, vcc
	v_mad_u64_u32 v[7:8], s[0:1], v6, v4, 0
	v_mad_u64_u32 v[10:11], s[0:1], v6, v10, 0
	v_add_co_u32_e32 v4, vcc, v12, v7
	v_addc_co_u32_e32 v4, vcc, v13, v8, vcc
	v_addc_co_u32_e32 v7, vcc, 0, v11, vcc
	v_add_co_u32_e32 v4, vcc, v4, v10
	v_addc_co_u32_e32 v10, vcc, 0, v7, vcc
	v_mul_lo_u32 v11, s21, v4
	v_mul_lo_u32 v12, s20, v10
	v_mad_u64_u32 v[7:8], s[0:1], s20, v4, 0
	v_add3_u32 v8, v8, v12, v11
	v_sub_u32_e32 v11, v6, v8
	v_mov_b32_e32 v12, s21
	v_sub_co_u32_e32 v7, vcc, v5, v7
	v_subb_co_u32_e64 v11, s[0:1], v11, v12, vcc
	v_subrev_co_u32_e64 v12, s[0:1], s20, v7
	v_subbrev_co_u32_e64 v11, s[0:1], 0, v11, s[0:1]
	v_cmp_le_u32_e64 s[0:1], s21, v11
	v_cndmask_b32_e64 v13, 0, -1, s[0:1]
	v_cmp_le_u32_e64 s[0:1], s20, v12
	v_cndmask_b32_e64 v12, 0, -1, s[0:1]
	v_cmp_eq_u32_e64 s[0:1], s21, v11
	v_cndmask_b32_e64 v11, v13, v12, s[0:1]
	v_add_co_u32_e64 v12, s[0:1], 2, v4
	v_addc_co_u32_e64 v13, s[0:1], 0, v10, s[0:1]
	v_add_co_u32_e64 v14, s[0:1], 1, v4
	v_addc_co_u32_e64 v15, s[0:1], 0, v10, s[0:1]
	v_subb_co_u32_e32 v8, vcc, v6, v8, vcc
	v_cmp_ne_u32_e64 s[0:1], 0, v11
	v_cmp_le_u32_e32 vcc, s21, v8
	v_cndmask_b32_e64 v11, v15, v13, s[0:1]
	v_cndmask_b32_e64 v13, 0, -1, vcc
	v_cmp_le_u32_e32 vcc, s20, v7
	v_cndmask_b32_e64 v7, 0, -1, vcc
	v_cmp_eq_u32_e32 vcc, s21, v8
	v_cndmask_b32_e32 v7, v13, v7, vcc
	v_cmp_ne_u32_e32 vcc, 0, v7
	v_cndmask_b32_e64 v7, v14, v12, s[0:1]
	v_cndmask_b32_e32 v8, v10, v11, vcc
	v_cndmask_b32_e32 v7, v4, v7, vcc
.LBB0_4:                                ;   in Loop: Header=BB0_2 Depth=1
	s_andn2_saveexec_b64 s[0:1], s[22:23]
	s_cbranch_execz .LBB0_6
; %bb.5:                                ;   in Loop: Header=BB0_2 Depth=1
	v_cvt_f32_u32_e32 v4, s20
	s_sub_i32 s22, 0, s20
	v_rcp_iflag_f32_e32 v4, v4
	v_mul_f32_e32 v4, 0x4f7ffffe, v4
	v_cvt_u32_f32_e32 v4, v4
	v_mul_lo_u32 v7, s22, v4
	v_mul_hi_u32 v7, v4, v7
	v_add_u32_e32 v4, v4, v7
	v_mul_hi_u32 v4, v5, v4
	v_mul_lo_u32 v7, v4, s20
	v_add_u32_e32 v8, 1, v4
	v_sub_u32_e32 v7, v5, v7
	v_subrev_u32_e32 v10, s20, v7
	v_cmp_le_u32_e32 vcc, s20, v7
	v_cndmask_b32_e32 v7, v7, v10, vcc
	v_cndmask_b32_e32 v4, v4, v8, vcc
	v_add_u32_e32 v8, 1, v4
	v_cmp_le_u32_e32 vcc, s20, v7
	v_cndmask_b32_e32 v7, v4, v8, vcc
	v_mov_b32_e32 v8, v3
.LBB0_6:                                ;   in Loop: Header=BB0_2 Depth=1
	s_or_b64 exec, exec, s[0:1]
	v_mul_lo_u32 v4, v8, s20
	v_mul_lo_u32 v12, v7, s21
	v_mad_u64_u32 v[10:11], s[0:1], v7, s20, 0
	s_load_dwordx2 s[0:1], s[6:7], 0x0
	s_add_u32 s18, s18, 1
	v_add3_u32 v4, v11, v12, v4
	v_sub_co_u32_e32 v5, vcc, v5, v10
	v_subb_co_u32_e32 v4, vcc, v6, v4, vcc
	s_waitcnt lgkmcnt(0)
	v_mul_lo_u32 v4, s0, v4
	v_mul_lo_u32 v6, s1, v5
	v_mad_u64_u32 v[1:2], s[0:1], s0, v5, v[1:2]
	s_addc_u32 s19, s19, 0
	s_add_u32 s6, s6, 8
	v_add3_u32 v2, v6, v2, v4
	v_mov_b32_e32 v4, s10
	v_mov_b32_e32 v5, s11
	s_addc_u32 s7, s7, 0
	v_cmp_ge_u64_e32 vcc, s[18:19], v[4:5]
	s_add_u32 s16, s16, 8
	s_addc_u32 s17, s17, 0
	s_cbranch_vccnz .LBB0_9
; %bb.7:                                ;   in Loop: Header=BB0_2 Depth=1
	v_mov_b32_e32 v5, v7
	v_mov_b32_e32 v6, v8
	s_branch .LBB0_2
.LBB0_8:
	v_mov_b32_e32 v8, v6
	v_mov_b32_e32 v7, v5
.LBB0_9:
	s_lshl_b64 s[0:1], s[10:11], 3
	s_add_u32 s0, s2, s0
	s_addc_u32 s1, s3, s1
	s_load_dwordx2 s[2:3], s[0:1], 0x0
	s_load_dwordx2 s[6:7], s[4:5], 0x20
                                        ; implicit-def: $vgpr26
                                        ; implicit-def: $vgpr15
                                        ; implicit-def: $vgpr27
                                        ; implicit-def: $vgpr10
                                        ; implicit-def: $vgpr24
                                        ; implicit-def: $vgpr14
                                        ; implicit-def: $vgpr25
                                        ; implicit-def: $vgpr22
                                        ; implicit-def: $vgpr12
                                        ; implicit-def: $vgpr23
                                        ; implicit-def: $vgpr13
                                        ; implicit-def: $vgpr16
                                        ; implicit-def: $vgpr6
                                        ; implicit-def: $vgpr20
                                        ; implicit-def: $vgpr17
                                        ; implicit-def: $vgpr21
                                        ; implicit-def: $vgpr18
                                        ; implicit-def: $vgpr11
                                        ; implicit-def: $vgpr19
	s_waitcnt lgkmcnt(0)
	v_mad_u64_u32 v[1:2], s[0:1], s2, v7, v[1:2]
	v_mul_lo_u32 v3, s2, v8
	v_mul_lo_u32 v4, s3, v7
	s_mov_b32 s0, 0x25ed098
	v_mul_hi_u32 v5, v0, s0
	v_cmp_gt_u64_e32 vcc, s[6:7], v[7:8]
	v_add3_u32 v2, v4, v2, v3
	v_lshlrev_b64 v[1:2], 2, v[1:2]
	v_mul_u32_u24_e32 v3, 0x6c, v5
	v_sub_u32_e32 v0, v0, v3
                                        ; implicit-def: $vgpr7
                                        ; implicit-def: $vgpr3
                                        ; implicit-def: $vgpr8
                                        ; implicit-def: $vgpr5
                                        ; implicit-def: $vgpr4
	s_and_saveexec_b64 s[2:3], vcc
	s_cbranch_execz .LBB0_13
; %bb.10:
	v_mad_u64_u32 v[3:4], s[0:1], s12, v0, 0
	v_add_u32_e32 v8, 0xb4, v0
	v_mov_b32_e32 v7, s15
	v_mad_u64_u32 v[4:5], s[0:1], s13, v0, v[4:5]
	v_mad_u64_u32 v[5:6], s[0:1], s12, v8, 0
	v_add_co_u32_e64 v16, s[0:1], s14, v1
	v_addc_co_u32_e64 v17, s[0:1], v7, v2, s[0:1]
	v_mad_u64_u32 v[6:7], s[0:1], s13, v8, v[6:7]
	v_add_u32_e32 v10, 0x168, v0
	v_mad_u64_u32 v[7:8], s[0:1], s12, v10, 0
	v_lshlrev_b64 v[3:4], 2, v[3:4]
                                        ; implicit-def: $vgpr27
                                        ; implicit-def: $vgpr26
	v_add_co_u32_e64 v12, s[0:1], v16, v3
	v_addc_co_u32_e64 v13, s[0:1], v17, v4, s[0:1]
	v_lshlrev_b64 v[3:4], 2, v[5:6]
	v_mov_b32_e32 v5, v8
	v_mad_u64_u32 v[5:6], s[0:1], s13, v10, v[5:6]
	v_add_u32_e32 v6, 0x21c, v0
	v_mad_u64_u32 v[10:11], s[0:1], s12, v6, 0
	v_add_co_u32_e64 v14, s[0:1], v16, v3
	v_mov_b32_e32 v8, v5
	v_mov_b32_e32 v5, v11
	v_addc_co_u32_e64 v15, s[0:1], v17, v4, s[0:1]
	v_lshlrev_b64 v[3:4], 2, v[7:8]
	v_mad_u64_u32 v[5:6], s[0:1], s13, v6, v[5:6]
	v_add_u32_e32 v8, 0x2d0, v0
	v_mad_u64_u32 v[6:7], s[0:1], s12, v8, 0
	v_add_co_u32_e64 v18, s[0:1], v16, v3
	v_mov_b32_e32 v11, v5
	v_mov_b32_e32 v5, v7
	v_addc_co_u32_e64 v19, s[0:1], v17, v4, s[0:1]
	v_mad_u64_u32 v[7:8], s[0:1], s13, v8, v[5:6]
	v_add_u32_e32 v8, 0x384, v0
	v_lshlrev_b64 v[3:4], 2, v[10:11]
	v_mad_u64_u32 v[10:11], s[0:1], s12, v8, 0
	v_add_co_u32_e64 v20, s[0:1], v16, v3
	v_mov_b32_e32 v5, v11
	v_addc_co_u32_e64 v21, s[0:1], v17, v4, s[0:1]
	v_lshlrev_b64 v[3:4], 2, v[6:7]
	v_mad_u64_u32 v[5:6], s[0:1], s13, v8, v[5:6]
	v_add_co_u32_e64 v22, s[0:1], v16, v3
	v_mov_b32_e32 v11, v5
	v_addc_co_u32_e64 v23, s[0:1], v17, v4, s[0:1]
	v_lshlrev_b64 v[3:4], 2, v[10:11]
                                        ; implicit-def: $vgpr7
                                        ; implicit-def: $vgpr10
	v_add_co_u32_e64 v24, s[0:1], v16, v3
	v_addc_co_u32_e64 v25, s[0:1], v17, v4, s[0:1]
	global_load_dword v4, v[12:13], off
	global_load_dword v11, v[14:15], off
	;; [unrolled: 1-line block ×6, first 2 shown]
	s_movk_i32 s0, 0x48
	v_cmp_gt_u32_e64 s[0:1], s0, v0
                                        ; implicit-def: $vgpr13
                                        ; implicit-def: $vgpr23
                                        ; implicit-def: $vgpr12
                                        ; implicit-def: $vgpr22
                                        ; implicit-def: $vgpr25
                                        ; implicit-def: $vgpr14
                                        ; implicit-def: $vgpr24
                                        ; implicit-def: $vgpr15
	s_and_saveexec_b64 s[4:5], s[0:1]
	s_cbranch_execz .LBB0_12
; %bb.11:
	v_add_u32_e32 v10, 0x6c, v0
	v_mad_u64_u32 v[12:13], s[0:1], s12, v10, 0
	v_add_u32_e32 v20, 0x120, v0
	v_mad_u64_u32 v[14:15], s[0:1], s12, v20, 0
	v_mov_b32_e32 v7, v13
	s_waitcnt vmcnt(2)
	v_mad_u64_u32 v[18:19], s[0:1], s13, v10, v[7:8]
	v_mov_b32_e32 v7, v15
	v_add_u32_e32 v10, 0x1d4, v0
	v_mov_b32_e32 v13, v18
	v_mad_u64_u32 v[18:19], s[0:1], s13, v20, v[7:8]
	v_mad_u64_u32 v[19:20], s[0:1], s12, v10, 0
	v_lshlrev_b64 v[12:13], 2, v[12:13]
	v_mov_b32_e32 v15, v18
	v_add_co_u32_e64 v21, s[0:1], v16, v12
	v_mov_b32_e32 v7, v20
	v_addc_co_u32_e64 v22, s[0:1], v17, v13, s[0:1]
	v_lshlrev_b64 v[12:13], 2, v[14:15]
	v_mad_u64_u32 v[14:15], s[0:1], s13, v10, v[7:8]
	v_add_u32_e32 v10, 0x288, v0
	v_mad_u64_u32 v[23:24], s[0:1], s12, v10, 0
	v_add_co_u32_e64 v25, s[0:1], v16, v12
	v_mov_b32_e32 v7, v24
	v_addc_co_u32_e64 v26, s[0:1], v17, v13, s[0:1]
	v_mov_b32_e32 v20, v14
	v_mad_u64_u32 v[14:15], s[0:1], s13, v10, v[7:8]
	v_add_u32_e32 v10, 0x33c, v0
	v_lshlrev_b64 v[12:13], 2, v[19:20]
	v_mad_u64_u32 v[18:19], s[0:1], s12, v10, 0
	v_add_co_u32_e64 v27, s[0:1], v16, v12
	v_mov_b32_e32 v7, v19
	v_addc_co_u32_e64 v28, s[0:1], v17, v13, s[0:1]
	v_mov_b32_e32 v24, v14
	v_mad_u64_u32 v[14:15], s[0:1], s13, v10, v[7:8]
	v_add_u32_e32 v10, 0x3f0, v0
	v_lshlrev_b64 v[12:13], 2, v[23:24]
	v_mad_u64_u32 v[23:24], s[0:1], s12, v10, 0
	v_add_co_u32_e64 v29, s[0:1], v16, v12
	v_mov_b32_e32 v7, v24
	v_addc_co_u32_e64 v30, s[0:1], v17, v13, s[0:1]
	v_mov_b32_e32 v19, v14
	v_mad_u64_u32 v[14:15], s[0:1], s13, v10, v[7:8]
	v_lshlrev_b64 v[12:13], 2, v[18:19]
	v_add_co_u32_e64 v18, s[0:1], v16, v12
	v_mov_b32_e32 v24, v14
	v_addc_co_u32_e64 v19, s[0:1], v17, v13, s[0:1]
	v_lshlrev_b64 v[12:13], 2, v[23:24]
	v_add_co_u32_e64 v16, s[0:1], v16, v12
	v_addc_co_u32_e64 v17, s[0:1], v17, v13, s[0:1]
	global_load_dword v13, v[21:22], off
	global_load_dword v12, v[25:26], off
	;; [unrolled: 1-line block ×6, first 2 shown]
	s_waitcnt vmcnt(5)
	v_lshrrev_b32_e32 v23, 16, v13
	s_waitcnt vmcnt(4)
	v_lshrrev_b32_e32 v22, 16, v12
	;; [unrolled: 2-line block ×6, first 2 shown]
.LBB0_12:
	s_or_b64 exec, exec, s[4:5]
	s_waitcnt vmcnt(5)
	v_lshrrev_b32_e32 v19, 16, v4
	s_waitcnt vmcnt(4)
	v_lshrrev_b32_e32 v18, 16, v11
	;; [unrolled: 2-line block ×6, first 2 shown]
.LBB0_13:
	s_or_b64 exec, exec, s[2:3]
	v_add_f16_e32 v28, v3, v5
	v_fma_f16 v28, v28, -0.5, v4
	s_mov_b32 s5, 0xbaee
	s_movk_i32 s4, 0x3aee
	v_sub_f16_e32 v29, v21, v20
	v_fma_f16 v33, v29, s5, v28
	v_fma_f16 v34, v29, s4, v28
	v_add_f16_e32 v28, v6, v8
	v_fma_f16 v28, v28, -0.5, v11
	v_add_f16_e32 v11, v8, v11
	v_add_f16_e32 v31, v6, v11
	v_sub_f16_e32 v6, v8, v6
	v_add_f16_e32 v8, v16, v17
	v_fma_f16 v8, v8, -0.5, v18
	v_sub_f16_e32 v30, v17, v16
	v_fma_f16 v11, v6, s5, v8
	v_fma_f16 v29, v30, s5, v28
	;; [unrolled: 1-line block ×4, first 2 shown]
	v_add_f16_e32 v4, v5, v4
	v_mul_f16_e32 v8, 0xbaee, v11
	v_add_f16_e32 v4, v3, v4
	v_fma_f16 v8, v28, -0.5, v8
	v_add_f16_e32 v6, v31, v4
	v_sub_f16_e32 v4, v4, v31
	v_add_f16_e32 v31, v34, v8
	v_pack_b32_f16 v4, v31, v4
	v_mul_f16_e32 v31, 0xbaee, v30
	v_fma_f16 v35, v29, 0.5, v31
	v_add_f16_e32 v31, v33, v35
	v_and_b32_e32 v9, 1, v9
	v_pack_b32_f16 v6, v6, v31
	v_mov_b32_e32 v31, 0x438
	v_cmp_eq_u32_e64 s[0:1], 1, v9
	v_cndmask_b32_e64 v9, 0, v31, s[0:1]
	v_mul_u32_u24_e32 v31, 6, v0
	v_lshl_add_u32 v32, v31, 1, 0
	v_lshl_add_u32 v31, v9, 1, v32
	ds_write2_b32 v31, v6, v4 offset1:1
	v_sub_f16_e32 v6, v34, v8
	v_add_f16_e32 v8, v10, v7
	v_sub_f16_e32 v4, v33, v35
	v_fma_f16 v8, v8, -0.5, v13
	v_sub_f16_e32 v33, v25, v27
	v_fma_f16 v37, v33, s5, v8
	v_fma_f16 v38, v33, s4, v8
	v_add_f16_e32 v8, v15, v14
	v_fma_f16 v8, v8, -0.5, v12
	v_sub_f16_e32 v33, v24, v26
	v_fma_f16 v34, v33, s5, v8
	v_fma_f16 v33, v33, s4, v8
	v_add_f16_e32 v8, v26, v24
	v_fma_f16 v8, v8, -0.5, v22
	v_sub_f16_e32 v36, v14, v15
	v_fma_f16 v35, v36, s4, v8
	v_pack_b32_f16 v4, v4, v6
	v_fma_f16 v36, v36, s5, v8
	ds_write_b32 v31, v4 offset:8
	v_mul_f16_e32 v4, 0xbaee, v35
	v_fma_f16 v39, v34, 0.5, v4
	v_mul_f16_e32 v4, 0xbaee, v36
	v_fma_f16 v40, v33, -0.5, v4
	s_movk_i32 s0, 0x48
	v_cmp_gt_u32_e64 s[0:1], s0, v0
	v_lshlrev_b32_e32 v4, 1, v9
	v_sub_f16_e32 v9, v37, v39
	v_sub_f16_e32 v8, v38, v40
	v_add_u32_e32 v6, 0x6c, v0
	s_and_saveexec_b64 s[2:3], s[0:1]
	s_cbranch_execz .LBB0_15
; %bb.14:
	v_add_f16_e32 v13, v7, v13
	v_add_f16_e32 v12, v14, v12
	;; [unrolled: 1-line block ×4, first 2 shown]
	s_mov_b32 s6, 0x5040100
	v_sub_f16_e32 v14, v13, v12
	v_add_f16_e32 v15, v38, v40
	v_mul_u32_u24_e32 v38, 12, v6
	v_perm_b32 v12, v37, v12, s6
	v_perm_b32 v13, v39, v13, s6
	v_add3_u32 v38, 0, v38, v4
	v_pk_add_f16 v12, v12, v13
	v_pack_b32_f16 v13, v15, v14
	ds_write2_b32 v38, v12, v13 offset1:1
	v_perm_b32 v12, v8, v9, s6
	ds_write_b32 v38, v12 offset:8
.LBB0_15:
	s_or_b64 exec, exec, s[2:3]
	v_add_f16_e32 v13, v20, v21
	v_fma_f16 v13, v13, -0.5, v19
	v_sub_f16_e32 v3, v5, v3
	v_mul_f16_e32 v11, -0.5, v11
	v_fma_f16 v5, v3, s4, v13
	v_fma_f16 v3, v3, s5, v13
	v_mul_f16_e32 v14, 0x3aee, v29
	v_fma_f16 v11, v28, s4, v11
	v_fma_f16 v14, v30, 0.5, v14
	v_add_f16_e32 v39, v3, v11
	v_sub_f16_e32 v42, v3, v11
	v_add_f16_e32 v3, v27, v25
	v_add_f16_e32 v38, v5, v14
	v_sub_f16_e32 v41, v5, v14
	v_fma_f16 v3, v3, -0.5, v23
	v_sub_f16_e32 v5, v7, v10
	v_fma_f16 v28, v5, s4, v3
	v_fma_f16 v29, v5, s5, v3
	v_mul_f16_e32 v3, 0x3aee, v34
	v_fma_f16 v30, v35, 0.5, v3
	v_mul_f16_e32 v3, -0.5, v36
	v_add_f16_e32 v12, v21, v19
	v_add_f16_e32 v13, v17, v18
	v_fma_f16 v33, v33, s4, v3
	v_lshlrev_b32_e32 v3, 1, v0
	v_add_f16_e32 v12, v20, v12
	v_add_f16_e32 v13, v16, v13
	v_add3_u32 v7, 0, v4, v3
	v_mul_i32_i24_e32 v5, -10, v0
	v_add_f16_e32 v37, v13, v12
	v_sub_f16_e32 v40, v12, v13
	s_waitcnt lgkmcnt(0)
	s_barrier
	v_add3_u32 v5, v32, v5, v4
	ds_read_u16 v12, v7
	ds_read_u16 v21, v5 offset:216
	ds_read_u16 v20, v5 offset:432
	;; [unrolled: 1-line block ×9, first 2 shown]
	v_pack_b32_f16 v32, v39, v40
	v_pack_b32_f16 v34, v37, v38
	v_sub_f16_e32 v11, v28, v30
	v_sub_f16_e32 v10, v29, v33
	s_waitcnt lgkmcnt(0)
	s_barrier
	ds_write2_b32 v31, v34, v32 offset1:1
	v_pack_b32_f16 v32, v41, v42
	ds_write_b32 v31, v32 offset:8
	s_and_saveexec_b64 s[2:3], s[0:1]
	s_cbranch_execz .LBB0_17
; %bb.16:
	v_add_f16_e32 v23, v25, v23
	v_add_f16_e32 v22, v24, v22
	;; [unrolled: 1-line block ×5, first 2 shown]
	v_sub_f16_e32 v22, v23, v22
	v_mul_u32_u24_e32 v23, 6, v6
	v_add_f16_e32 v25, v28, v30
	v_add_f16_e32 v26, v29, v33
	v_lshlrev_b32_e32 v23, 1, v23
	v_add3_u32 v23, 0, v23, v4
	v_pack_b32_f16 v22, v26, v22
	v_pack_b32_f16 v24, v24, v25
	s_mov_b32 s4, 0x5040100
	ds_write2_b32 v23, v24, v22 offset1:1
	v_perm_b32 v22, v10, v11, s4
	ds_write_b32 v23, v22 offset:8
.LBB0_17:
	s_or_b64 exec, exec, s[2:3]
	s_movk_i32 s2, 0xab
	v_mul_lo_u16_sdwa v22, v0, s2 dst_sel:DWORD dst_unused:UNUSED_PAD src0_sel:BYTE_0 src1_sel:DWORD
	v_lshrrev_b16_e32 v44, 10, v22
	v_mul_lo_u16_e32 v22, 6, v44
	v_sub_u16_e32 v45, v0, v22
	v_mov_b32_e32 v22, 9
	v_mul_u32_u24_sdwa v22, v45, v22 dst_sel:DWORD dst_unused:UNUSED_PAD src0_sel:BYTE_0 src1_sel:DWORD
	v_lshlrev_b32_e32 v26, 2, v22
	s_waitcnt lgkmcnt(0)
	s_barrier
	global_load_dwordx4 v[22:25], v26, s[8:9]
	global_load_dwordx4 v[35:38], v26, s[8:9] offset:16
	global_load_dword v30, v26, s[8:9] offset:32
	ds_read_u16 v28, v5 offset:432
	ds_read_u16 v29, v5 offset:648
	;; [unrolled: 1-line block ×9, first 2 shown]
	ds_read_u16 v26, v7
	s_mov_b32 s7, 0xbb9c
	s_movk_i32 s5, 0x3b9c
	s_mov_b32 s6, 0xb8b4
	s_movk_i32 s4, 0x38b4
	s_movk_i32 s10, 0x34f2
	;; [unrolled: 1-line block ×3, first 2 shown]
	s_waitcnt vmcnt(0) lgkmcnt(0)
	s_barrier
	v_mul_f16_sdwa v33, v27, v22 dst_sel:DWORD dst_unused:UNUSED_PAD src0_sel:DWORD src1_sel:WORD_1
	v_mul_f16_sdwa v34, v21, v22 dst_sel:DWORD dst_unused:UNUSED_PAD src0_sel:DWORD src1_sel:WORD_1
	;; [unrolled: 1-line block ×14, first 2 shown]
	v_fma_f16 v21, v21, v22, v33
	v_fma_f16 v27, v27, v22, -v34
	v_fma_f16 v33, v20, v23, v43
	v_fma_f16 v22, v19, v24, v47
	v_fma_f16 v19, v29, v24, -v48
	v_fma_f16 v34, v18, v25, v49
	v_fma_f16 v29, v31, v25, -v50
	v_fma_f16 v17, v17, v35, v51
	v_fma_f16 v20, v32, v35, -v52
	v_fma_f16 v35, v16, v36, v53
	v_fma_f16 v31, v39, v36, -v54
	v_fma_f16 v36, v14, v38, v57
	v_mul_f16_sdwa v55, v40, v37 dst_sel:DWORD dst_unused:UNUSED_PAD src0_sel:DWORD src1_sel:WORD_1
	v_mul_f16_sdwa v56, v15, v37 dst_sel:DWORD dst_unused:UNUSED_PAD src0_sel:DWORD src1_sel:WORD_1
	v_fma_f16 v28, v28, v23, -v46
	v_fma_f16 v32, v41, v38, -v58
	v_add_f16_e32 v18, v34, v35
	v_add_f16_e32 v38, v33, v36
	v_fma_f16 v16, v15, v37, v55
	v_fma_f16 v15, v40, v37, -v56
	v_add_f16_e32 v14, v12, v33
	v_sub_f16_e32 v23, v28, v32
	v_sub_f16_e32 v24, v29, v31
	;; [unrolled: 1-line block ×6, first 2 shown]
	v_fma_f16 v18, v18, -0.5, v12
	v_fma_f16 v12, v38, -0.5, v12
	v_add_f16_e32 v41, v21, v22
	v_add_f16_e32 v25, v25, v37
	;; [unrolled: 1-line block ×3, first 2 shown]
	v_fma_f16 v39, v23, s7, v18
	v_fma_f16 v18, v23, s5, v18
	;; [unrolled: 1-line block ×4, first 2 shown]
	v_mul_f16_sdwa v59, v42, v30 dst_sel:DWORD dst_unused:UNUSED_PAD src0_sel:DWORD src1_sel:WORD_1
	v_add_f16_e32 v38, v41, v17
	v_fma_f16 v39, v24, s6, v39
	v_fma_f16 v18, v24, s4, v18
	;; [unrolled: 1-line block ×3, first 2 shown]
	v_mul_f16_sdwa v60, v13, v30 dst_sel:DWORD dst_unused:UNUSED_PAD src0_sel:DWORD src1_sel:WORD_1
	v_fma_f16 v13, v13, v30, v59
	v_fma_f16 v24, v23, s6, v40
	;; [unrolled: 1-line block ×5, first 2 shown]
	v_add_f16_e32 v12, v38, v16
	v_fma_f16 v30, v42, v30, -v60
	v_add_f16_e32 v46, v12, v13
	v_add_f16_e32 v12, v17, v16
	v_fma_f16 v12, v12, -0.5, v21
	v_sub_f16_e32 v39, v19, v30
	v_fma_f16 v24, v37, s10, v24
	v_fma_f16 v37, v39, s7, v12
	v_sub_f16_e32 v40, v20, v15
	v_sub_f16_e32 v38, v22, v17
	;; [unrolled: 1-line block ×3, first 2 shown]
	v_fma_f16 v12, v39, s5, v12
	v_fma_f16 v37, v40, s6, v37
	v_add_f16_e32 v38, v38, v41
	v_fma_f16 v12, v40, s4, v12
	v_fma_f16 v37, v38, s10, v37
	;; [unrolled: 1-line block ×3, first 2 shown]
	v_add_f16_e32 v38, v22, v13
	v_fma_f16 v21, v38, -0.5, v21
	v_fma_f16 v38, v40, s5, v21
	v_sub_f16_e32 v41, v17, v22
	v_sub_f16_e32 v42, v16, v13
	v_fma_f16 v21, v40, s7, v21
	v_add_f16_e32 v41, v41, v42
	v_fma_f16 v21, v39, s4, v21
	v_fma_f16 v38, v39, s6, v38
	;; [unrolled: 1-line block ×3, first 2 shown]
	v_add_f16_e32 v21, v20, v15
	v_fma_f16 v21, v21, -0.5, v27
	v_sub_f16_e32 v13, v22, v13
	v_fma_f16 v22, v13, s5, v21
	v_sub_f16_e32 v16, v17, v16
	v_fma_f16 v17, v16, s4, v22
	v_sub_f16_e32 v22, v19, v20
	v_sub_f16_e32 v40, v30, v15
	v_add_f16_e32 v22, v22, v40
	v_fma_f16 v38, v41, s10, v38
	v_fma_f16 v41, v22, s10, v17
	;; [unrolled: 1-line block ×5, first 2 shown]
	v_add_f16_e32 v17, v19, v30
	v_fma_f16 v17, v17, -0.5, v27
	v_add_f16_e32 v14, v14, v34
	v_fma_f16 v21, v16, s7, v17
	v_sub_f16_e32 v22, v20, v19
	v_sub_f16_e32 v42, v15, v30
	v_fma_f16 v16, v16, s5, v17
	v_add_f16_e32 v14, v14, v35
	v_fma_f16 v21, v13, s4, v21
	v_add_f16_e32 v22, v22, v42
	;; [unrolled: 2-line block ×3, first 2 shown]
	v_fma_f16 v42, v22, s10, v21
	v_fma_f16 v43, v22, s10, v13
	v_mul_f16_e32 v13, 0xb8b4, v41
	v_add_f16_e32 v17, v14, v46
	v_fma_f16 v13, v37, s2, v13
	v_mul_f16_e32 v16, 0xbb9c, v42
	v_sub_f16_e32 v22, v14, v46
	v_mul_f16_e32 v14, 0xbb9c, v43
	s_mov_b32 s2, 0xb4f2
	v_add_f16_e32 v21, v23, v13
	v_fma_f16 v16, v38, s10, v16
	v_sub_f16_e32 v13, v23, v13
	v_fma_f16 v23, v39, s2, v14
	v_add_f16_e32 v46, v24, v16
	v_sub_f16_e32 v14, v24, v16
	v_add_f16_e32 v24, v25, v23
	v_sub_f16_e32 v16, v25, v23
	v_mul_f16_e32 v23, 0xb8b4, v40
	s_mov_b32 s2, 0xba79
	v_fma_f16 v23, v12, s2, v23
	v_add_f16_e32 v25, v18, v23
	v_sub_f16_e32 v18, v18, v23
	v_mov_b32_e32 v23, 1
	s_movk_i32 s2, 0x78
	v_lshlrev_b32_sdwa v23, v23, v45 dst_sel:DWORD dst_unused:UNUSED_PAD src0_sel:DWORD src1_sel:BYTE_0
	v_mad_u32_u24 v44, v44, s2, 0
	v_add3_u32 v44, v44, v23, v4
	ds_write_b16 v44, v17
	ds_write_b16 v44, v21 offset:12
	ds_write_b16 v44, v46 offset:24
	;; [unrolled: 1-line block ×9, first 2 shown]
	s_waitcnt lgkmcnt(0)
	s_barrier
	ds_read_u16 v17, v7
	ds_read_u16 v25, v5 offset:360
	ds_read_u16 v24, v5 offset:720
	;; [unrolled: 1-line block ×5, first 2 shown]
	s_and_saveexec_b64 s[2:3], s[0:1]
	s_cbranch_execz .LBB0_19
; %bb.18:
	ds_read_u16 v13, v5 offset:216
	ds_read_u16 v14, v5 offset:576
	;; [unrolled: 1-line block ×6, first 2 shown]
.LBB0_19:
	s_or_b64 exec, exec, s[2:3]
	v_add_f16_e32 v46, v29, v31
	v_fma_f16 v46, v46, -0.5, v26
	v_sub_f16_e32 v33, v33, v36
	v_fma_f16 v36, v33, s5, v46
	v_sub_f16_e32 v34, v34, v35
	v_fma_f16 v35, v34, s4, v36
	v_sub_f16_e32 v36, v28, v29
	v_sub_f16_e32 v47, v32, v31
	v_fma_f16 v46, v33, s7, v46
	v_add_f16_e32 v36, v36, v47
	v_fma_f16 v46, v34, s6, v46
	v_fma_f16 v35, v36, s10, v35
	;; [unrolled: 1-line block ×3, first 2 shown]
	v_add_f16_e32 v46, v28, v32
	v_add_f16_e32 v19, v27, v19
	;; [unrolled: 1-line block ×3, first 2 shown]
	v_fma_f16 v26, v46, -0.5, v26
	v_add_f16_e32 v19, v19, v20
	v_add_f16_e32 v45, v45, v29
	v_fma_f16 v46, v34, s7, v26
	v_sub_f16_e32 v28, v29, v28
	v_sub_f16_e32 v29, v31, v32
	v_fma_f16 v26, v34, s5, v26
	v_add_f16_e32 v15, v19, v15
	v_add_f16_e32 v45, v45, v31
	;; [unrolled: 1-line block ×3, first 2 shown]
	v_fma_f16 v26, v33, s6, v26
	v_add_f16_e32 v15, v15, v30
	v_mul_f16_e32 v20, 0x3a79, v41
	v_mul_f16_e32 v30, 0x34f2, v43
	v_add_f16_e32 v45, v45, v32
	v_fma_f16 v46, v33, s4, v46
	v_fma_f16 v26, v28, s10, v26
	;; [unrolled: 1-line block ×3, first 2 shown]
	v_mul_f16_e32 v27, 0x34f2, v42
	v_fma_f16 v30, v39, s5, -v30
	v_mul_f16_e32 v33, 0x3a79, v40
	v_fma_f16 v29, v28, s10, v46
	v_add_f16_e32 v19, v45, v15
	v_add_f16_e32 v28, v35, v20
	v_fma_f16 v27, v38, s5, v27
	v_add_f16_e32 v32, v26, v30
	v_fma_f16 v34, v12, s4, -v33
	v_sub_f16_e32 v15, v45, v15
	v_add_f16_e32 v31, v29, v27
	v_add_f16_e32 v37, v36, v34
	v_sub_f16_e32 v12, v35, v20
	v_sub_f16_e32 v27, v29, v27
	;; [unrolled: 1-line block ×4, first 2 shown]
	s_waitcnt lgkmcnt(0)
	s_barrier
	ds_write_b16 v44, v19
	ds_write_b16 v44, v28 offset:12
	ds_write_b16 v44, v31 offset:24
	;; [unrolled: 1-line block ×9, first 2 shown]
	s_waitcnt lgkmcnt(0)
	s_barrier
	ds_read_u16 v15, v7
	ds_read_u16 v26, v5 offset:360
	ds_read_u16 v34, v5 offset:720
	;; [unrolled: 1-line block ×5, first 2 shown]
	s_and_saveexec_b64 s[2:3], s[0:1]
	s_cbranch_execz .LBB0_21
; %bb.20:
	ds_read_u16 v12, v5 offset:216
	ds_read_u16 v27, v5 offset:576
	;; [unrolled: 1-line block ×6, first 2 shown]
.LBB0_21:
	s_or_b64 exec, exec, s[2:3]
	v_subrev_u32_e32 v19, 60, v0
	v_cmp_gt_u32_e64 s[2:3], 60, v0
	v_cndmask_b32_e64 v46, v19, v0, s[2:3]
	v_mul_i32_i24_e32 v19, 5, v46
	v_mov_b32_e32 v20, 0
	v_lshlrev_b64 v[19:20], 2, v[19:20]
	v_mov_b32_e32 v31, s9
	v_add_co_u32_e64 v19, s[2:3], s8, v19
	v_addc_co_u32_e64 v20, s[2:3], v31, v20, s[2:3]
	s_movk_i32 s2, 0x89
	global_load_dwordx4 v[35:38], v[19:20], off offset:216
	global_load_dword v43, v[19:20], off offset:232
	v_mul_lo_u16_sdwa v19, v6, s2 dst_sel:DWORD dst_unused:UNUSED_PAD src0_sel:BYTE_0 src1_sel:DWORD
	v_lshrrev_b16_e32 v19, 13, v19
	v_mul_lo_u16_e32 v20, 60, v19
	v_mov_b32_e32 v31, 5
	v_sub_u16_e32 v20, v6, v20
	v_mul_u32_u24_sdwa v31, v20, v31 dst_sel:DWORD dst_unused:UNUSED_PAD src0_sel:BYTE_0 src1_sel:DWORD
	v_lshlrev_b32_e32 v31, 2, v31
	global_load_dwordx4 v[39:42], v31, s[8:9] offset:216
	global_load_dword v44, v31, s[8:9] offset:232
	s_movk_i32 s3, 0x3aee
	s_mov_b32 s2, 0xbaee
	v_lshlrev_b32_e32 v46, 1, v46
	s_movk_i32 s4, 0x2d0
	s_waitcnt vmcnt(0) lgkmcnt(0)
	s_barrier
	v_mul_f16_sdwa v31, v26, v35 dst_sel:DWORD dst_unused:UNUSED_PAD src0_sel:DWORD src1_sel:WORD_1
	v_mul_f16_sdwa v45, v25, v35 dst_sel:DWORD dst_unused:UNUSED_PAD src0_sel:DWORD src1_sel:WORD_1
	;; [unrolled: 1-line block ×10, first 2 shown]
	v_fma_f16 v25, v25, v35, v31
	v_fma_f16 v26, v26, v35, -v45
	v_fma_f16 v31, v24, v36, v47
	v_fma_f16 v34, v34, v36, -v48
	;; [unrolled: 2-line block ×5, first 2 shown]
	v_mul_f16_sdwa v24, v14, v39 dst_sel:DWORD dst_unused:UNUSED_PAD src0_sel:DWORD src1_sel:WORD_1
	v_mul_f16_sdwa v29, v33, v40 dst_sel:DWORD dst_unused:UNUSED_PAD src0_sel:DWORD src1_sel:WORD_1
	;; [unrolled: 1-line block ×10, first 2 shown]
	v_fma_f16 v27, v27, v39, -v24
	v_fma_f16 v29, v16, v40, v29
	v_fma_f16 v33, v33, v40, -v35
	v_fma_f16 v24, v18, v41, v37
	v_fma_f16 v37, v11, v42, -v47
	v_fma_f16 v11, v10, v44, -v49
	v_add_f16_e32 v10, v31, v36
	v_add_f16_e32 v18, v23, v21
	;; [unrolled: 1-line block ×3, first 2 shown]
	v_fma_f16 v35, v9, v42, v45
	v_add_f16_e32 v9, v17, v31
	v_add_f16_e32 v16, v25, v23
	v_sub_f16_e32 v23, v23, v21
	v_fma_f16 v10, v10, -0.5, v17
	v_fma_f16 v17, v18, -0.5, v25
	;; [unrolled: 1-line block ×3, first 2 shown]
	v_fma_f16 v22, v14, v39, v22
	v_sub_f16_e32 v39, v28, v32
	v_add_f16_e32 v9, v9, v36
	v_add_f16_e32 v16, v16, v21
	v_fma_f16 v42, v23, s3, v18
	v_fma_f16 v30, v30, v41, -v43
	v_sub_f16_e32 v14, v34, v38
	v_fma_f16 v40, v39, s2, v17
	v_fma_f16 v41, v23, s2, v18
	v_add_f16_e32 v23, v9, v16
	v_sub_f16_e32 v25, v9, v16
	v_mul_f16_e32 v9, 0xbaee, v42
	v_fma_f16 v21, v14, s2, v10
	v_fma_f16 v10, v14, s3, v10
	;; [unrolled: 1-line block ×3, first 2 shown]
	v_mul_f16_e32 v14, 0xbaee, v41
	v_fma_f16 v9, v40, 0.5, v9
	v_fma_f16 v14, v39, -0.5, v14
	v_add_f16_e32 v47, v21, v9
	v_sub_f16_e32 v49, v21, v9
	v_add_f16_e32 v9, v13, v29
	v_fma_f16 v8, v8, v44, v48
	v_add_f16_e32 v48, v10, v14
	v_sub_f16_e32 v50, v10, v14
	v_add_f16_e32 v14, v9, v35
	v_add_f16_e32 v9, v29, v35
	v_fma_f16 v9, v9, -0.5, v13
	v_sub_f16_e32 v10, v33, v37
	v_fma_f16 v16, v10, s2, v9
	v_fma_f16 v17, v10, s3, v9
	v_add_f16_e32 v9, v22, v24
	v_add_f16_e32 v18, v9, v8
	;; [unrolled: 1-line block ×3, first 2 shown]
	v_fma_f16 v9, v9, -0.5, v22
	v_sub_f16_e32 v10, v30, v11
	v_fma_f16 v43, v10, s2, v9
	v_fma_f16 v13, v10, s3, v9
	v_add_f16_e32 v9, v30, v11
	v_fma_f16 v9, v9, -0.5, v27
	v_sub_f16_e32 v8, v24, v8
	v_fma_f16 v45, v8, s3, v9
	v_fma_f16 v44, v8, s2, v9
	v_mul_f16_e32 v8, 0xbaee, v45
	v_mov_b32_e32 v24, 0x2d0
	v_cmp_lt_u32_e64 s[2:3], 59, v0
	v_fma_f16 v21, v43, 0.5, v8
	v_mul_f16_e32 v8, 0xbaee, v44
	v_cndmask_b32_e64 v24, 0, v24, s[2:3]
	v_fma_f16 v22, v13, -0.5, v8
	v_add_u32_e32 v24, 0, v24
	v_sub_f16_e32 v8, v14, v18
	v_sub_f16_e32 v10, v16, v21
	;; [unrolled: 1-line block ×3, first 2 shown]
	v_add3_u32 v46, v24, v46, v4
	ds_write_b16 v46, v23
	ds_write_b16 v46, v47 offset:120
	ds_write_b16 v46, v48 offset:240
	ds_write_b16 v46, v25 offset:360
	ds_write_b16 v46, v49 offset:480
	ds_write_b16 v46, v50 offset:600
	s_and_saveexec_b64 s[2:3], s[0:1]
	s_cbranch_execz .LBB0_23
; %bb.22:
	v_add_f16_e32 v16, v16, v21
	v_mov_b32_e32 v21, 1
	v_add_f16_e32 v14, v14, v18
	v_mad_u32_u24 v18, v19, s4, 0
	v_lshlrev_b32_sdwa v21, v21, v20 dst_sel:DWORD dst_unused:UNUSED_PAD src0_sel:DWORD src1_sel:BYTE_0
	v_add3_u32 v18, v18, v21, v4
	v_add_f16_e32 v17, v17, v22
	ds_write_b16 v18, v14
	ds_write_b16 v18, v16 offset:120
	ds_write_b16 v18, v17 offset:240
	ds_write_b16 v18, v8 offset:360
	ds_write_b16 v18, v10 offset:480
	ds_write_b16 v18, v9 offset:600
.LBB0_23:
	s_or_b64 exec, exec, s[2:3]
	s_waitcnt lgkmcnt(0)
	s_barrier
	ds_read_u16 v14, v7
	ds_read_u16 v16, v5 offset:216
	ds_read_u16 v21, v5 offset:936
	;; [unrolled: 1-line block ×8, first 2 shown]
	v_cmp_gt_u32_e64 s[2:3], 36, v0
	s_and_saveexec_b64 s[4:5], s[2:3]
	s_cbranch_execz .LBB0_25
; %bb.24:
	ds_read_u16 v8, v5 offset:648
	ds_read_u16 v10, v5 offset:1368
	ds_read_u16 v9, v5 offset:2088
.LBB0_25:
	s_or_b64 exec, exec, s[4:5]
	v_add_f16_e32 v47, v15, v34
	v_add_f16_e32 v34, v34, v38
	;; [unrolled: 1-line block ×4, first 2 shown]
	v_fma_f16 v15, v34, -0.5, v15
	v_sub_f16_e32 v31, v31, v36
	s_movk_i32 s4, 0x3aee
	s_mov_b32 s5, 0xbaee
	v_add_f16_e32 v26, v26, v32
	v_mul_f16_e32 v28, 0.5, v42
	v_mul_f16_e32 v36, -0.5, v41
	v_fma_f16 v34, v31, s4, v15
	v_fma_f16 v15, v31, s5, v15
	v_add_f16_e32 v31, v47, v26
	v_fma_f16 v28, v40, s4, v28
	v_fma_f16 v36, v39, s4, v36
	v_sub_f16_e32 v39, v47, v26
	v_add_f16_e32 v26, v33, v37
	v_add_f16_e32 v32, v34, v28
	;; [unrolled: 1-line block ×3, first 2 shown]
	v_sub_f16_e32 v34, v34, v28
	v_sub_f16_e32 v36, v15, v36
	v_add_f16_e32 v15, v12, v33
	v_fma_f16 v12, v26, -0.5, v12
	v_sub_f16_e32 v28, v29, v35
	v_fma_f16 v26, v28, s4, v12
	v_fma_f16 v28, v28, s5, v12
	v_add_f16_e32 v12, v27, v30
	v_add_f16_e32 v27, v12, v11
	v_mul_f16_e32 v11, 0.5, v45
	v_fma_f16 v29, v43, s4, v11
	v_mul_f16_e32 v11, -0.5, v44
	v_add_f16_e32 v15, v15, v37
	v_fma_f16 v30, v13, s4, v11
	v_sub_f16_e32 v11, v15, v27
	v_sub_f16_e32 v13, v26, v29
	;; [unrolled: 1-line block ×3, first 2 shown]
	s_waitcnt lgkmcnt(0)
	s_barrier
	ds_write_b16 v46, v31
	ds_write_b16 v46, v32 offset:120
	ds_write_b16 v46, v38 offset:240
	ds_write_b16 v46, v39 offset:360
	ds_write_b16 v46, v34 offset:480
	ds_write_b16 v46, v36 offset:600
	s_and_saveexec_b64 s[4:5], s[0:1]
	s_cbranch_execz .LBB0_27
; %bb.26:
	v_add_f16_e32 v15, v15, v27
	v_add_f16_e32 v27, v28, v30
	s_movk_i32 s0, 0x2d0
	v_mov_b32_e32 v28, 1
	v_mad_u32_u24 v19, v19, s0, 0
	v_lshlrev_b32_sdwa v20, v28, v20 dst_sel:DWORD dst_unused:UNUSED_PAD src0_sel:DWORD src1_sel:BYTE_0
	v_add3_u32 v4, v19, v20, v4
	v_add_f16_e32 v26, v26, v29
	ds_write_b16 v4, v15
	ds_write_b16 v4, v26 offset:120
	ds_write_b16 v4, v27 offset:240
	;; [unrolled: 1-line block ×5, first 2 shown]
.LBB0_27:
	s_or_b64 exec, exec, s[4:5]
	s_waitcnt lgkmcnt(0)
	s_barrier
	ds_read_u16 v7, v7
	ds_read_u16 v15, v5 offset:216
	ds_read_u16 v26, v5 offset:936
	;; [unrolled: 1-line block ×8, first 2 shown]
	s_and_saveexec_b64 s[0:1], s[2:3]
	s_cbranch_execz .LBB0_29
; %bb.28:
	ds_read_u16 v11, v5 offset:648
	ds_read_u16 v13, v5 offset:1368
	;; [unrolled: 1-line block ×3, first 2 shown]
.LBB0_29:
	s_or_b64 exec, exec, s[0:1]
	s_and_saveexec_b64 s[0:1], vcc
	s_cbranch_execz .LBB0_32
; %bb.30:
	v_add_u32_e32 v37, 0xd8, v0
	v_lshlrev_b32_e32 v4, 1, v37
	v_mov_b32_e32 v5, 0
	v_lshlrev_b64 v[31:32], 2, v[4:5]
	v_lshlrev_b32_e32 v4, 1, v6
	v_mov_b32_e32 v35, s9
	v_add_co_u32_e32 v31, vcc, s8, v31
	v_lshlrev_b64 v[33:34], 2, v[4:5]
	v_addc_co_u32_e32 v32, vcc, v35, v32, vcc
	v_mov_b32_e32 v4, v5
	v_add_co_u32_e32 v33, vcc, s8, v33
	v_lshlrev_b64 v[3:4], 2, v[3:4]
	v_addc_co_u32_e32 v34, vcc, v35, v34, vcc
	global_load_dwordx2 v[31:32], v[31:32], off offset:1416
	v_add_co_u32_e32 v3, vcc, s8, v3
	global_load_dwordx2 v[33:34], v[33:34], off offset:1416
	v_addc_co_u32_e32 v4, vcc, v35, v4, vcc
	global_load_dwordx2 v[3:4], v[3:4], off offset:1416
	v_mad_u64_u32 v[35:36], s[4:5], s12, v0, 0
	s_mov_b32 s0, 0xbaee
	s_movk_i32 s1, 0x3aee
	v_add_co_u32_e32 v1, vcc, s14, v1
	s_movk_i32 s6, 0x2d0
	s_waitcnt vmcnt(2)
	v_mul_f16_sdwa v38, v24, v31 dst_sel:DWORD dst_unused:UNUSED_PAD src0_sel:DWORD src1_sel:WORD_1
	v_mul_f16_sdwa v39, v25, v32 dst_sel:DWORD dst_unused:UNUSED_PAD src0_sel:DWORD src1_sel:WORD_1
	s_waitcnt lgkmcnt(3)
	v_mul_f16_sdwa v40, v29, v31 dst_sel:DWORD dst_unused:UNUSED_PAD src0_sel:DWORD src1_sel:WORD_1
	s_waitcnt lgkmcnt(0)
	v_mul_f16_sdwa v41, v30, v32 dst_sel:DWORD dst_unused:UNUSED_PAD src0_sel:DWORD src1_sel:WORD_1
	v_fma_f16 v29, v29, v31, -v38
	v_fma_f16 v30, v30, v32, -v39
	v_fma_f16 v24, v24, v31, v40
	v_fma_f16 v25, v25, v32, v41
	s_waitcnt vmcnt(1)
	v_mul_f16_sdwa v31, v21, v33 dst_sel:DWORD dst_unused:UNUSED_PAD src0_sel:DWORD src1_sel:WORD_1
	v_mul_f16_sdwa v32, v22, v34 dst_sel:DWORD dst_unused:UNUSED_PAD src0_sel:DWORD src1_sel:WORD_1
	;; [unrolled: 1-line block ×4, first 2 shown]
	s_waitcnt vmcnt(0)
	v_mul_f16_sdwa v40, v23, v3 dst_sel:DWORD dst_unused:UNUSED_PAD src0_sel:DWORD src1_sel:WORD_1
	v_mul_f16_sdwa v41, v17, v4 dst_sel:DWORD dst_unused:UNUSED_PAD src0_sel:DWORD src1_sel:WORD_1
	;; [unrolled: 1-line block ×4, first 2 shown]
	v_add_f16_e32 v44, v29, v30
	v_sub_f16_e32 v45, v24, v25
	v_add_f16_e32 v47, v24, v25
	v_add_f16_e32 v24, v18, v24
	v_fma_f16 v26, v26, v33, -v31
	v_fma_f16 v27, v27, v34, -v32
	v_fma_f16 v21, v21, v33, v38
	v_fma_f16 v22, v22, v34, v39
	v_fma_f16 v28, v28, v3, -v40
	v_fma_f16 v19, v19, v4, -v41
	v_fma_f16 v23, v23, v3, v42
	v_fma_f16 v17, v17, v4, v43
	v_fma_f16 v3, v44, -0.5, v20
	v_fma_f16 v4, v47, -0.5, v18
	v_add_f16_e32 v18, v24, v25
	v_add_f16_e32 v24, v26, v27
	;; [unrolled: 1-line block ×3, first 2 shown]
	v_sub_f16_e32 v29, v29, v30
	v_sub_f16_e32 v25, v21, v22
	v_add_f16_e32 v31, v21, v22
	v_add_f16_e32 v21, v16, v21
	v_fma_f16 v39, v45, s0, v3
	v_fma_f16 v40, v45, s1, v3
	v_fma_f16 v3, v24, -0.5, v15
	v_add_f16_e32 v20, v46, v30
	v_add_f16_e32 v30, v15, v26
	v_sub_f16_e32 v26, v26, v27
	v_fma_f16 v41, v29, s1, v4
	v_fma_f16 v29, v29, s0, v4
	v_fma_f16 v4, v31, -0.5, v16
	v_add_f16_e32 v21, v21, v22
	v_fma_f16 v22, v25, s0, v3
	v_fma_f16 v25, v25, s1, v3
	v_mov_b32_e32 v3, v36
	v_add_f16_e32 v24, v30, v27
	v_fma_f16 v27, v26, s1, v4
	v_fma_f16 v26, v26, s0, v4
	v_mad_u64_u32 v[3:4], s[4:5], s13, v0, v[3:4]
	v_add_f16_e32 v32, v28, v19
	v_sub_f16_e32 v33, v23, v17
	v_add_f16_e32 v34, v7, v28
	v_fma_f16 v7, v32, -0.5, v7
	v_add_f16_e32 v4, v14, v23
	v_add_u32_e32 v16, 0x168, v0
	v_fma_f16 v30, v33, s0, v7
	v_fma_f16 v31, v33, s1, v7
	v_add_f16_e32 v7, v4, v17
	v_mov_b32_e32 v36, v3
	v_mad_u64_u32 v[3:4], s[4:5], s12, v16, 0
	v_add_f16_e32 v38, v23, v17
	v_sub_f16_e32 v28, v28, v19
	v_fma_f16 v15, v38, -0.5, v14
	v_mov_b32_e32 v14, s15
	v_fma_f16 v32, v28, s1, v15
	v_fma_f16 v28, v28, s0, v15
	v_addc_co_u32_e32 v2, vcc, v14, v2, vcc
	v_lshlrev_b64 v[14:15], 2, v[35:36]
	v_mad_u64_u32 v[16:17], s[4:5], s13, v16, v[4:5]
	v_add_f16_e32 v19, v34, v19
	v_add_co_u32_e32 v14, vcc, v1, v14
	v_addc_co_u32_e32 v15, vcc, v2, v15, vcc
	v_pack_b32_f16 v4, v7, v19
	global_store_dword v[14:15], v4, off
	v_mov_b32_e32 v4, v16
	v_add_u32_e32 v16, 0x2d0, v0
	v_mad_u64_u32 v[14:15], s[4:5], s12, v16, 0
	v_lshlrev_b64 v[3:4], 2, v[3:4]
	v_pack_b32_f16 v19, v32, v30
	v_mov_b32_e32 v7, v15
	v_mad_u64_u32 v[15:16], s[4:5], s13, v16, v[7:8]
	v_add_co_u32_e32 v3, vcc, v1, v3
	v_addc_co_u32_e32 v4, vcc, v2, v4, vcc
	v_pack_b32_f16 v7, v28, v31
	global_store_dword v[3:4], v7, off
	v_lshlrev_b64 v[3:4], 2, v[14:15]
	v_mad_u64_u32 v[14:15], s[4:5], s12, v6, 0
	v_add_co_u32_e32 v3, vcc, v1, v3
	v_mov_b32_e32 v7, v15
	v_mad_u64_u32 v[6:7], s[4:5], s13, v6, v[7:8]
	v_add_u32_e32 v7, 0x1d4, v0
	v_mad_u64_u32 v[16:17], s[4:5], s12, v7, 0
	v_addc_co_u32_e32 v4, vcc, v2, v4, vcc
	v_mov_b32_e32 v15, v6
	v_mov_b32_e32 v6, v17
	global_store_dword v[3:4], v19, off
	v_lshlrev_b64 v[3:4], 2, v[14:15]
	v_mad_u64_u32 v[6:7], s[4:5], s13, v7, v[6:7]
	v_add_co_u32_e32 v3, vcc, v1, v3
	v_addc_co_u32_e32 v4, vcc, v2, v4, vcc
	v_pack_b32_f16 v7, v21, v24
	v_add_u32_e32 v14, 0x33c, v0
	global_store_dword v[3:4], v7, off
	v_mov_b32_e32 v17, v6
	v_mad_u64_u32 v[6:7], s[4:5], s12, v14, 0
	v_lshrrev_b32_e32 v15, 3, v37
	s_mov_b32 s4, 0x16c16c17
	v_lshlrev_b64 v[3:4], 2, v[16:17]
	v_mul_hi_u32 v16, v15, s4
	v_mad_u64_u32 v[14:15], s[4:5], s13, v14, v[7:8]
	v_add_co_u32_e32 v3, vcc, v1, v3
	v_lshrrev_b32_e32 v7, 2, v16
	v_mad_u32_u24 v19, v7, s6, v37
	v_mad_u64_u32 v[15:16], s[4:5], s12, v19, 0
	v_addc_co_u32_e32 v4, vcc, v2, v4, vcc
	v_pack_b32_f16 v17, v26, v25
	v_mov_b32_e32 v7, v14
	global_store_dword v[3:4], v17, off
	v_lshlrev_b64 v[3:4], 2, v[6:7]
	v_mov_b32_e32 v6, v16
	v_mad_u64_u32 v[6:7], s[4:5], s13, v19, v[6:7]
	v_add_co_u32_e32 v3, vcc, v1, v3
	v_addc_co_u32_e32 v4, vcc, v2, v4, vcc
	v_pack_b32_f16 v7, v27, v22
	v_add_u32_e32 v14, 0x168, v19
	global_store_dword v[3:4], v7, off
	v_mov_b32_e32 v16, v6
	v_mad_u64_u32 v[6:7], s[4:5], s12, v14, 0
	v_lshlrev_b64 v[3:4], 2, v[15:16]
	v_pack_b32_f16 v17, v18, v20
	v_mad_u64_u32 v[14:15], s[4:5], s13, v14, v[7:8]
	v_add_u32_e32 v18, 0x2d0, v19
	v_mad_u64_u32 v[15:16], s[4:5], s12, v18, 0
	v_add_co_u32_e32 v3, vcc, v1, v3
	v_addc_co_u32_e32 v4, vcc, v2, v4, vcc
	v_mov_b32_e32 v7, v14
	global_store_dword v[3:4], v17, off
	v_lshlrev_b64 v[3:4], 2, v[6:7]
	v_mov_b32_e32 v6, v16
	v_mad_u64_u32 v[6:7], s[4:5], s13, v18, v[6:7]
	v_add_co_u32_e32 v3, vcc, v1, v3
	v_addc_co_u32_e32 v4, vcc, v2, v4, vcc
	v_pack_b32_f16 v7, v29, v40
	v_mov_b32_e32 v16, v6
	global_store_dword v[3:4], v7, off
	v_lshlrev_b64 v[3:4], 2, v[15:16]
	v_pack_b32_f16 v6, v41, v39
	v_add_co_u32_e32 v3, vcc, v1, v3
	v_addc_co_u32_e32 v4, vcc, v2, v4, vcc
	global_store_dword v[3:4], v6, off
	s_and_b64 exec, exec, s[2:3]
	s_cbranch_execz .LBB0_32
; %bb.31:
	v_add_u32_e32 v18, 0x144, v0
	v_subrev_u32_e32 v3, 36, v0
	v_cndmask_b32_e64 v3, v3, v18, s[2:3]
	v_lshlrev_b32_e32 v4, 1, v3
	v_lshlrev_b64 v[3:4], 2, v[4:5]
	v_mov_b32_e32 v5, s9
	v_add_co_u32_e32 v3, vcc, s8, v3
	v_addc_co_u32_e32 v4, vcc, v5, v4, vcc
	global_load_dwordx2 v[3:4], v[3:4], off offset:1416
	v_add_u32_e32 v20, 0x414, v0
	v_mad_u64_u32 v[5:6], s[2:3], s12, v18, 0
	v_add_u32_e32 v19, 0x2ac, v0
	v_mad_u64_u32 v[16:17], s[2:3], s12, v20, 0
	v_mad_u64_u32 v[14:15], s[2:3], s12, v19, 0
	v_mov_b32_e32 v0, v6
	v_mov_b32_e32 v7, v17
	v_mad_u64_u32 v[17:18], s[2:3], s13, v18, v[0:1]
	v_mov_b32_e32 v6, v15
	v_mad_u64_u32 v[18:19], s[2:3], s13, v19, v[6:7]
	v_mad_u64_u32 v[19:20], s[2:3], s13, v20, v[7:8]
	v_mov_b32_e32 v6, v17
	v_lshlrev_b64 v[5:6], 2, v[5:6]
	v_mov_b32_e32 v15, v18
	v_lshlrev_b64 v[14:15], 2, v[14:15]
	v_add_co_u32_e32 v5, vcc, v1, v5
	v_mov_b32_e32 v17, v19
	v_addc_co_u32_e32 v6, vcc, v2, v6, vcc
	v_lshlrev_b64 v[16:17], 2, v[16:17]
	v_add_co_u32_e32 v14, vcc, v1, v14
	v_addc_co_u32_e32 v15, vcc, v2, v15, vcc
	v_add_co_u32_e32 v0, vcc, v1, v16
	v_addc_co_u32_e32 v1, vcc, v2, v17, vcc
	s_waitcnt vmcnt(0)
	v_mul_f16_sdwa v2, v13, v3 dst_sel:DWORD dst_unused:UNUSED_PAD src0_sel:DWORD src1_sel:WORD_1
	v_mul_f16_sdwa v7, v10, v3 dst_sel:DWORD dst_unused:UNUSED_PAD src0_sel:DWORD src1_sel:WORD_1
	;; [unrolled: 1-line block ×4, first 2 shown]
	v_fma_f16 v2, v10, v3, v2
	v_fma_f16 v3, v13, v3, -v7
	v_fma_f16 v7, v9, v4, v16
	v_fma_f16 v4, v12, v4, -v17
	v_add_f16_e32 v9, v8, v2
	v_add_f16_e32 v10, v2, v7
	v_sub_f16_e32 v12, v3, v4
	v_add_f16_e32 v13, v11, v3
	v_add_f16_e32 v3, v3, v4
	v_sub_f16_e32 v2, v2, v7
	v_add_f16_e32 v7, v9, v7
	v_fma_f16 v8, v10, -0.5, v8
	v_add_f16_e32 v4, v13, v4
	v_fma_f16 v3, v3, -0.5, v11
	v_fma_f16 v9, v12, s0, v8
	v_fma_f16 v10, v2, s1, v3
	;; [unrolled: 1-line block ×3, first 2 shown]
	v_pack_b32_f16 v3, v7, v4
	v_fma_f16 v8, v12, s1, v8
	global_store_dword v[5:6], v3, off
	v_pack_b32_f16 v3, v9, v10
	v_pack_b32_f16 v2, v8, v2
	global_store_dword v[14:15], v3, off
	global_store_dword v[0:1], v2, off
.LBB0_32:
	s_endpgm
	.section	.rodata,"a",@progbits
	.p2align	6, 0x0
	.amdhsa_kernel fft_rtc_back_len1080_factors_6_10_6_3_wgs_216_tpt_108_halfLds_half_ip_CI_sbrr_dirReg
		.amdhsa_group_segment_fixed_size 0
		.amdhsa_private_segment_fixed_size 0
		.amdhsa_kernarg_size 88
		.amdhsa_user_sgpr_count 6
		.amdhsa_user_sgpr_private_segment_buffer 1
		.amdhsa_user_sgpr_dispatch_ptr 0
		.amdhsa_user_sgpr_queue_ptr 0
		.amdhsa_user_sgpr_kernarg_segment_ptr 1
		.amdhsa_user_sgpr_dispatch_id 0
		.amdhsa_user_sgpr_flat_scratch_init 0
		.amdhsa_user_sgpr_private_segment_size 0
		.amdhsa_uses_dynamic_stack 0
		.amdhsa_system_sgpr_private_segment_wavefront_offset 0
		.amdhsa_system_sgpr_workgroup_id_x 1
		.amdhsa_system_sgpr_workgroup_id_y 0
		.amdhsa_system_sgpr_workgroup_id_z 0
		.amdhsa_system_sgpr_workgroup_info 0
		.amdhsa_system_vgpr_workitem_id 0
		.amdhsa_next_free_vgpr 61
		.amdhsa_next_free_sgpr 24
		.amdhsa_reserve_vcc 1
		.amdhsa_reserve_flat_scratch 0
		.amdhsa_float_round_mode_32 0
		.amdhsa_float_round_mode_16_64 0
		.amdhsa_float_denorm_mode_32 3
		.amdhsa_float_denorm_mode_16_64 3
		.amdhsa_dx10_clamp 1
		.amdhsa_ieee_mode 1
		.amdhsa_fp16_overflow 0
		.amdhsa_exception_fp_ieee_invalid_op 0
		.amdhsa_exception_fp_denorm_src 0
		.amdhsa_exception_fp_ieee_div_zero 0
		.amdhsa_exception_fp_ieee_overflow 0
		.amdhsa_exception_fp_ieee_underflow 0
		.amdhsa_exception_fp_ieee_inexact 0
		.amdhsa_exception_int_div_zero 0
	.end_amdhsa_kernel
	.text
.Lfunc_end0:
	.size	fft_rtc_back_len1080_factors_6_10_6_3_wgs_216_tpt_108_halfLds_half_ip_CI_sbrr_dirReg, .Lfunc_end0-fft_rtc_back_len1080_factors_6_10_6_3_wgs_216_tpt_108_halfLds_half_ip_CI_sbrr_dirReg
                                        ; -- End function
	.section	.AMDGPU.csdata,"",@progbits
; Kernel info:
; codeLenInByte = 7936
; NumSgprs: 28
; NumVgprs: 61
; ScratchSize: 0
; MemoryBound: 0
; FloatMode: 240
; IeeeMode: 1
; LDSByteSize: 0 bytes/workgroup (compile time only)
; SGPRBlocks: 3
; VGPRBlocks: 15
; NumSGPRsForWavesPerEU: 28
; NumVGPRsForWavesPerEU: 61
; Occupancy: 4
; WaveLimiterHint : 1
; COMPUTE_PGM_RSRC2:SCRATCH_EN: 0
; COMPUTE_PGM_RSRC2:USER_SGPR: 6
; COMPUTE_PGM_RSRC2:TRAP_HANDLER: 0
; COMPUTE_PGM_RSRC2:TGID_X_EN: 1
; COMPUTE_PGM_RSRC2:TGID_Y_EN: 0
; COMPUTE_PGM_RSRC2:TGID_Z_EN: 0
; COMPUTE_PGM_RSRC2:TIDIG_COMP_CNT: 0
	.type	__hip_cuid_8f07449ebd869527,@object ; @__hip_cuid_8f07449ebd869527
	.section	.bss,"aw",@nobits
	.globl	__hip_cuid_8f07449ebd869527
__hip_cuid_8f07449ebd869527:
	.byte	0                               ; 0x0
	.size	__hip_cuid_8f07449ebd869527, 1

	.ident	"AMD clang version 19.0.0git (https://github.com/RadeonOpenCompute/llvm-project roc-6.4.0 25133 c7fe45cf4b819c5991fe208aaa96edf142730f1d)"
	.section	".note.GNU-stack","",@progbits
	.addrsig
	.addrsig_sym __hip_cuid_8f07449ebd869527
	.amdgpu_metadata
---
amdhsa.kernels:
  - .args:
      - .actual_access:  read_only
        .address_space:  global
        .offset:         0
        .size:           8
        .value_kind:     global_buffer
      - .offset:         8
        .size:           8
        .value_kind:     by_value
      - .actual_access:  read_only
        .address_space:  global
        .offset:         16
        .size:           8
        .value_kind:     global_buffer
      - .actual_access:  read_only
        .address_space:  global
        .offset:         24
        .size:           8
        .value_kind:     global_buffer
      - .offset:         32
        .size:           8
        .value_kind:     by_value
      - .actual_access:  read_only
        .address_space:  global
        .offset:         40
        .size:           8
        .value_kind:     global_buffer
      - .actual_access:  read_only
        .address_space:  global
        .offset:         48
        .size:           8
        .value_kind:     global_buffer
      - .offset:         56
        .size:           4
        .value_kind:     by_value
      - .actual_access:  read_only
        .address_space:  global
        .offset:         64
        .size:           8
        .value_kind:     global_buffer
      - .actual_access:  read_only
        .address_space:  global
        .offset:         72
        .size:           8
        .value_kind:     global_buffer
      - .address_space:  global
        .offset:         80
        .size:           8
        .value_kind:     global_buffer
    .group_segment_fixed_size: 0
    .kernarg_segment_align: 8
    .kernarg_segment_size: 88
    .language:       OpenCL C
    .language_version:
      - 2
      - 0
    .max_flat_workgroup_size: 216
    .name:           fft_rtc_back_len1080_factors_6_10_6_3_wgs_216_tpt_108_halfLds_half_ip_CI_sbrr_dirReg
    .private_segment_fixed_size: 0
    .sgpr_count:     28
    .sgpr_spill_count: 0
    .symbol:         fft_rtc_back_len1080_factors_6_10_6_3_wgs_216_tpt_108_halfLds_half_ip_CI_sbrr_dirReg.kd
    .uniform_work_group_size: 1
    .uses_dynamic_stack: false
    .vgpr_count:     61
    .vgpr_spill_count: 0
    .wavefront_size: 64
amdhsa.target:   amdgcn-amd-amdhsa--gfx906
amdhsa.version:
  - 1
  - 2
...

	.end_amdgpu_metadata
